;; amdgpu-corpus repo=ROCm/rocFFT kind=compiled arch=gfx906 opt=O3
	.text
	.amdgcn_target "amdgcn-amd-amdhsa--gfx906"
	.amdhsa_code_object_version 6
	.protected	fft_rtc_back_len726_factors_11_6_11_wgs_132_tpt_66_half_op_CI_CI_unitstride_sbrr_dirReg ; -- Begin function fft_rtc_back_len726_factors_11_6_11_wgs_132_tpt_66_half_op_CI_CI_unitstride_sbrr_dirReg
	.globl	fft_rtc_back_len726_factors_11_6_11_wgs_132_tpt_66_half_op_CI_CI_unitstride_sbrr_dirReg
	.p2align	8
	.type	fft_rtc_back_len726_factors_11_6_11_wgs_132_tpt_66_half_op_CI_CI_unitstride_sbrr_dirReg,@function
fft_rtc_back_len726_factors_11_6_11_wgs_132_tpt_66_half_op_CI_CI_unitstride_sbrr_dirReg: ; @fft_rtc_back_len726_factors_11_6_11_wgs_132_tpt_66_half_op_CI_CI_unitstride_sbrr_dirReg
; %bb.0:
	s_load_dwordx4 s[8:11], s[4:5], 0x58
	s_load_dwordx4 s[12:15], s[4:5], 0x0
	;; [unrolled: 1-line block ×3, first 2 shown]
	v_mul_u32_u24_e32 v1, 0x3e1, v0
	v_lshrrev_b32_e32 v12, 16, v1
	v_mov_b32_e32 v3, 0
	s_waitcnt lgkmcnt(0)
	v_cmp_lt_u64_e64 s[0:1], s[14:15], 2
	v_mov_b32_e32 v8, 0
	v_lshl_add_u32 v10, s6, 1, v12
	v_mov_b32_e32 v11, v3
	s_and_b64 vcc, exec, s[0:1]
	v_mov_b32_e32 v9, 0
	s_cbranch_vccnz .LBB0_8
; %bb.1:
	s_load_dwordx2 s[0:1], s[4:5], 0x10
	s_add_u32 s2, s18, 8
	s_addc_u32 s3, s19, 0
	s_add_u32 s6, s16, 8
	s_addc_u32 s7, s17, 0
	v_mov_b32_e32 v8, 0
	s_waitcnt lgkmcnt(0)
	s_add_u32 s20, s0, 8
	v_mov_b32_e32 v9, 0
	v_mov_b32_e32 v1, v8
	s_addc_u32 s21, s1, 0
	s_mov_b64 s[22:23], 1
	v_mov_b32_e32 v2, v9
.LBB0_2:                                ; =>This Inner Loop Header: Depth=1
	s_load_dwordx2 s[24:25], s[20:21], 0x0
                                        ; implicit-def: $vgpr5_vgpr6
	s_waitcnt lgkmcnt(0)
	v_or_b32_e32 v4, s25, v11
	v_cmp_ne_u64_e32 vcc, 0, v[3:4]
	s_and_saveexec_b64 s[0:1], vcc
	s_xor_b64 s[26:27], exec, s[0:1]
	s_cbranch_execz .LBB0_4
; %bb.3:                                ;   in Loop: Header=BB0_2 Depth=1
	v_cvt_f32_u32_e32 v4, s24
	v_cvt_f32_u32_e32 v5, s25
	s_sub_u32 s0, 0, s24
	s_subb_u32 s1, 0, s25
	v_mac_f32_e32 v4, 0x4f800000, v5
	v_rcp_f32_e32 v4, v4
	v_mul_f32_e32 v4, 0x5f7ffffc, v4
	v_mul_f32_e32 v5, 0x2f800000, v4
	v_trunc_f32_e32 v5, v5
	v_mac_f32_e32 v4, 0xcf800000, v5
	v_cvt_u32_f32_e32 v5, v5
	v_cvt_u32_f32_e32 v4, v4
	v_mul_lo_u32 v6, s0, v5
	v_mul_hi_u32 v7, s0, v4
	v_mul_lo_u32 v14, s1, v4
	v_mul_lo_u32 v13, s0, v4
	v_add_u32_e32 v6, v7, v6
	v_add_u32_e32 v6, v6, v14
	v_mul_hi_u32 v7, v4, v13
	v_mul_lo_u32 v14, v4, v6
	v_mul_hi_u32 v16, v4, v6
	v_mul_hi_u32 v15, v5, v13
	v_mul_lo_u32 v13, v5, v13
	v_mul_hi_u32 v17, v5, v6
	v_add_co_u32_e32 v7, vcc, v7, v14
	v_addc_co_u32_e32 v14, vcc, 0, v16, vcc
	v_mul_lo_u32 v6, v5, v6
	v_add_co_u32_e32 v7, vcc, v7, v13
	v_addc_co_u32_e32 v7, vcc, v14, v15, vcc
	v_addc_co_u32_e32 v13, vcc, 0, v17, vcc
	v_add_co_u32_e32 v6, vcc, v7, v6
	v_addc_co_u32_e32 v7, vcc, 0, v13, vcc
	v_add_co_u32_e32 v4, vcc, v4, v6
	v_addc_co_u32_e32 v5, vcc, v5, v7, vcc
	v_mul_lo_u32 v6, s0, v5
	v_mul_hi_u32 v7, s0, v4
	v_mul_lo_u32 v13, s1, v4
	v_mul_lo_u32 v14, s0, v4
	v_add_u32_e32 v6, v7, v6
	v_add_u32_e32 v6, v6, v13
	v_mul_lo_u32 v15, v4, v6
	v_mul_hi_u32 v16, v4, v14
	v_mul_hi_u32 v17, v4, v6
	;; [unrolled: 1-line block ×3, first 2 shown]
	v_mul_lo_u32 v14, v5, v14
	v_mul_hi_u32 v7, v5, v6
	v_add_co_u32_e32 v15, vcc, v16, v15
	v_addc_co_u32_e32 v16, vcc, 0, v17, vcc
	v_mul_lo_u32 v6, v5, v6
	v_add_co_u32_e32 v14, vcc, v15, v14
	v_addc_co_u32_e32 v13, vcc, v16, v13, vcc
	v_addc_co_u32_e32 v7, vcc, 0, v7, vcc
	v_add_co_u32_e32 v6, vcc, v13, v6
	v_addc_co_u32_e32 v7, vcc, 0, v7, vcc
	v_add_co_u32_e32 v6, vcc, v4, v6
	v_addc_co_u32_e32 v7, vcc, v5, v7, vcc
	v_mad_u64_u32 v[4:5], s[0:1], v10, v7, 0
	v_mul_hi_u32 v13, v10, v6
	v_add_co_u32_e32 v13, vcc, v13, v4
	v_addc_co_u32_e32 v14, vcc, 0, v5, vcc
	v_mad_u64_u32 v[4:5], s[0:1], v11, v6, 0
	v_mad_u64_u32 v[6:7], s[0:1], v11, v7, 0
	v_add_co_u32_e32 v4, vcc, v13, v4
	v_addc_co_u32_e32 v4, vcc, v14, v5, vcc
	v_addc_co_u32_e32 v5, vcc, 0, v7, vcc
	v_add_co_u32_e32 v7, vcc, v4, v6
	v_addc_co_u32_e32 v6, vcc, 0, v5, vcc
	v_mul_lo_u32 v13, s25, v7
	v_mul_lo_u32 v14, s24, v6
	v_mad_u64_u32 v[4:5], s[0:1], s24, v7, 0
	v_add3_u32 v5, v5, v14, v13
	v_sub_u32_e32 v13, v11, v5
	v_mov_b32_e32 v14, s25
	v_sub_co_u32_e32 v4, vcc, v10, v4
	v_subb_co_u32_e64 v13, s[0:1], v13, v14, vcc
	v_subrev_co_u32_e64 v14, s[0:1], s24, v4
	v_subbrev_co_u32_e64 v13, s[0:1], 0, v13, s[0:1]
	v_cmp_le_u32_e64 s[0:1], s25, v13
	v_cndmask_b32_e64 v15, 0, -1, s[0:1]
	v_cmp_le_u32_e64 s[0:1], s24, v14
	v_cndmask_b32_e64 v14, 0, -1, s[0:1]
	v_cmp_eq_u32_e64 s[0:1], s25, v13
	v_cndmask_b32_e64 v13, v15, v14, s[0:1]
	v_add_co_u32_e64 v14, s[0:1], 2, v7
	v_addc_co_u32_e64 v15, s[0:1], 0, v6, s[0:1]
	v_add_co_u32_e64 v16, s[0:1], 1, v7
	v_addc_co_u32_e64 v17, s[0:1], 0, v6, s[0:1]
	v_subb_co_u32_e32 v5, vcc, v11, v5, vcc
	v_cmp_ne_u32_e64 s[0:1], 0, v13
	v_cmp_le_u32_e32 vcc, s25, v5
	v_cndmask_b32_e64 v13, v17, v15, s[0:1]
	v_cndmask_b32_e64 v15, 0, -1, vcc
	v_cmp_le_u32_e32 vcc, s24, v4
	v_cndmask_b32_e64 v4, 0, -1, vcc
	v_cmp_eq_u32_e32 vcc, s25, v5
	v_cndmask_b32_e32 v4, v15, v4, vcc
	v_cmp_ne_u32_e32 vcc, 0, v4
	v_cndmask_b32_e64 v4, v16, v14, s[0:1]
	v_cndmask_b32_e32 v6, v6, v13, vcc
	v_cndmask_b32_e32 v5, v7, v4, vcc
.LBB0_4:                                ;   in Loop: Header=BB0_2 Depth=1
	s_andn2_saveexec_b64 s[0:1], s[26:27]
	s_cbranch_execz .LBB0_6
; %bb.5:                                ;   in Loop: Header=BB0_2 Depth=1
	v_cvt_f32_u32_e32 v4, s24
	s_sub_i32 s26, 0, s24
	v_rcp_iflag_f32_e32 v4, v4
	v_mul_f32_e32 v4, 0x4f7ffffe, v4
	v_cvt_u32_f32_e32 v4, v4
	v_mul_lo_u32 v5, s26, v4
	v_mul_hi_u32 v5, v4, v5
	v_add_u32_e32 v4, v4, v5
	v_mul_hi_u32 v4, v10, v4
	v_mul_lo_u32 v5, v4, s24
	v_add_u32_e32 v6, 1, v4
	v_sub_u32_e32 v5, v10, v5
	v_subrev_u32_e32 v7, s24, v5
	v_cmp_le_u32_e32 vcc, s24, v5
	v_cndmask_b32_e32 v5, v5, v7, vcc
	v_cndmask_b32_e32 v4, v4, v6, vcc
	v_add_u32_e32 v6, 1, v4
	v_cmp_le_u32_e32 vcc, s24, v5
	v_cndmask_b32_e32 v5, v4, v6, vcc
	v_mov_b32_e32 v6, v3
.LBB0_6:                                ;   in Loop: Header=BB0_2 Depth=1
	s_or_b64 exec, exec, s[0:1]
	v_mul_lo_u32 v4, v6, s24
	v_mul_lo_u32 v7, v5, s25
	v_mad_u64_u32 v[13:14], s[0:1], v5, s24, 0
	s_load_dwordx2 s[0:1], s[6:7], 0x0
	s_load_dwordx2 s[24:25], s[2:3], 0x0
	v_add3_u32 v4, v14, v7, v4
	v_sub_co_u32_e32 v7, vcc, v10, v13
	v_subb_co_u32_e32 v4, vcc, v11, v4, vcc
	s_waitcnt lgkmcnt(0)
	v_mul_lo_u32 v10, s0, v4
	v_mul_lo_u32 v11, s1, v7
	v_mad_u64_u32 v[8:9], s[0:1], s0, v7, v[8:9]
	s_add_u32 s22, s22, 1
	s_addc_u32 s23, s23, 0
	s_add_u32 s2, s2, 8
	v_mul_lo_u32 v4, s24, v4
	v_mul_lo_u32 v13, s25, v7
	v_mad_u64_u32 v[1:2], s[0:1], s24, v7, v[1:2]
	v_add3_u32 v9, v11, v9, v10
	s_addc_u32 s3, s3, 0
	v_mov_b32_e32 v10, s14
	s_add_u32 s6, s6, 8
	v_mov_b32_e32 v11, s15
	s_addc_u32 s7, s7, 0
	v_cmp_ge_u64_e32 vcc, s[22:23], v[10:11]
	s_add_u32 s20, s20, 8
	v_add3_u32 v2, v13, v2, v4
	s_addc_u32 s21, s21, 0
	s_cbranch_vccnz .LBB0_9
; %bb.7:                                ;   in Loop: Header=BB0_2 Depth=1
	v_mov_b32_e32 v11, v6
	v_mov_b32_e32 v10, v5
	s_branch .LBB0_2
.LBB0_8:
	v_mov_b32_e32 v1, v8
	v_mov_b32_e32 v5, v10
	;; [unrolled: 1-line block ×4, first 2 shown]
.LBB0_9:
	s_load_dwordx2 s[0:1], s[4:5], 0x28
	s_lshl_b64 s[6:7], s[14:15], 3
	s_add_u32 s2, s18, s6
	s_addc_u32 s3, s19, s7
                                        ; implicit-def: $sgpr18
                                        ; implicit-def: $sgpr14_sgpr15
                                        ; implicit-def: $vgpr7
	s_waitcnt lgkmcnt(0)
	v_cmp_gt_u64_e32 vcc, s[0:1], v[5:6]
	v_cmp_le_u64_e64 s[0:1], s[0:1], v[5:6]
	s_and_saveexec_b64 s[4:5], s[0:1]
	s_xor_b64 s[0:1], exec, s[4:5]
; %bb.10:
	s_mov_b32 s4, 0x3e0f83f
	v_mul_hi_u32 v3, v0, s4
	s_mov_b64 s[14:15], 0
	s_mov_b32 s18, 0
                                        ; implicit-def: $vgpr8_vgpr9
	v_mul_u32_u24_e32 v3, 0x42, v3
	v_sub_u32_e32 v7, v0, v3
                                        ; implicit-def: $vgpr0
; %bb.11:
	s_or_saveexec_b64 s[4:5], s[0:1]
	v_mov_b32_e32 v3, s14
	v_mov_b32_e32 v4, s15
	;; [unrolled: 1-line block ×3, first 2 shown]
                                        ; implicit-def: $vgpr14
                                        ; implicit-def: $vgpr15
                                        ; implicit-def: $vgpr16
                                        ; implicit-def: $vgpr17
                                        ; implicit-def: $vgpr18
                                        ; implicit-def: $vgpr19
                                        ; implicit-def: $vgpr20
                                        ; implicit-def: $vgpr21
                                        ; implicit-def: $vgpr22
                                        ; implicit-def: $vgpr23
	s_xor_b64 exec, exec, s[4:5]
	s_cbranch_execz .LBB0_13
; %bb.12:
	s_add_u32 s0, s16, s6
	s_addc_u32 s1, s17, s7
	s_load_dwordx2 s[0:1], s[0:1], 0x0
	s_mov_b32 s6, 0x3e0f83f
	v_mul_hi_u32 v7, v0, s6
	s_waitcnt lgkmcnt(0)
	v_mul_lo_u32 v10, s1, v5
	v_mul_lo_u32 v11, s0, v6
	v_mad_u64_u32 v[3:4], s[0:1], s0, v5, 0
	v_mul_u32_u24_e32 v7, 0x42, v7
	v_sub_u32_e32 v7, v0, v7
	v_add3_u32 v4, v4, v11, v10
	v_lshlrev_b64 v[3:4], 2, v[3:4]
	v_mov_b32_e32 v0, s9
	v_add_co_u32_e64 v10, s[0:1], s8, v3
	v_addc_co_u32_e64 v0, s[0:1], v0, v4, s[0:1]
	v_lshlrev_b64 v[3:4], 2, v[8:9]
	v_mov_b32_e32 v8, 0
	v_add_co_u32_e64 v3, s[0:1], v10, v3
	v_addc_co_u32_e64 v0, s[0:1], v0, v4, s[0:1]
	v_lshlrev_b32_e32 v4, 2, v7
	v_add_co_u32_e64 v3, s[0:1], v3, v4
	v_addc_co_u32_e64 v4, s[0:1], 0, v0, s[0:1]
	global_load_dword v13, v[3:4], off
	global_load_dword v22, v[3:4], off offset:264
	global_load_dword v20, v[3:4], off offset:528
	;; [unrolled: 1-line block ×10, first 2 shown]
	v_mov_b32_e32 v3, v7
	v_mov_b32_e32 v4, v8
.LBB0_13:
	s_or_b64 exec, exec, s[4:5]
	s_waitcnt vmcnt(0)
	v_pk_add_f16 v24, v22, v23 neg_lo:[0,1] neg_hi:[0,1]
	s_mov_b32 s1, 0xbb47
	v_pk_add_f16 v0, v22, v23
	v_mul_f16_sdwa v25, v24, s1 dst_sel:DWORD dst_unused:UNUSED_PAD src0_sel:WORD_1 src1_sel:DWORD
	s_movk_i32 s4, 0x36a6
	s_mov_b32 s0, 0xba0c
	v_pk_add_f16 v27, v20, v21 neg_lo:[0,1] neg_hi:[0,1]
	v_fma_f16 v8, v0, s4, -v25
	s_mov_b32 s5, 0xb93d
	v_pk_add_f16 v26, v20, v21
	v_mul_f16_sdwa v28, v27, s0 dst_sel:DWORD dst_unused:UNUSED_PAD src0_sel:WORD_1 src1_sel:DWORD
	s_mov_b32 s9, 0xbbeb
	v_add_f16_e32 v8, v8, v13
	v_fma_f16 v9, v26, s5, -v28
	s_mov_b32 s6, 0xb08e
	s_movk_i32 s8, 0x3482
	v_mul_f16_sdwa v29, v24, s9 dst_sel:DWORD dst_unused:UNUSED_PAD src0_sel:WORD_1 src1_sel:DWORD
	v_add_f16_e32 v8, v9, v8
	s_mov_b32 s7, 0xbbad
	v_fma_f16 v9, v0, s6, -v29
	v_mul_f16_sdwa v30, v27, s8 dst_sel:DWORD dst_unused:UNUSED_PAD src0_sel:WORD_1 src1_sel:DWORD
	v_pk_add_f16 v32, v18, v19 neg_lo:[0,1] neg_hi:[0,1]
	v_add_f16_e32 v9, v9, v13
	v_fma_f16 v10, v26, s7, -v30
	v_pk_add_f16 v31, v18, v19
	v_mul_f16_sdwa v33, v32, s8 dst_sel:DWORD dst_unused:UNUSED_PAD src0_sel:WORD_1 src1_sel:DWORD
	s_movk_i32 s14, 0x3b47
	v_add_f16_e32 v9, v10, v9
	v_fma_f16 v10, v31, s7, -v33
	v_mul_f16_sdwa v34, v32, s14 dst_sel:DWORD dst_unused:UNUSED_PAD src0_sel:WORD_1 src1_sel:DWORD
	s_movk_i32 s15, 0x3beb
	v_pk_add_f16 v36, v16, v17 neg_lo:[0,1] neg_hi:[0,1]
	v_add_f16_e32 v8, v10, v8
	v_fma_f16 v10, v31, s4, -v34
	v_pk_add_f16 v35, v16, v17
	v_mul_f16_sdwa v37, v36, s15 dst_sel:DWORD dst_unused:UNUSED_PAD src0_sel:WORD_1 src1_sel:DWORD
	s_mov_b32 s16, 0xb853
	v_add_f16_e32 v9, v10, v9
	v_fma_f16 v10, v35, s6, -v37
	s_movk_i32 s8, 0x3abb
	v_mul_f16_sdwa v38, v36, s16 dst_sel:DWORD dst_unused:UNUSED_PAD src0_sel:WORD_1 src1_sel:DWORD
	s_movk_i32 s17, 0x3853
	v_pk_add_f16 v40, v14, v15 neg_lo:[0,1] neg_hi:[0,1]
	v_add_f16_e32 v8, v10, v8
	v_fma_f16 v10, v35, s8, -v38
	v_pk_add_f16 v39, v14, v15
	v_mul_f16_sdwa v41, v40, s17 dst_sel:DWORD dst_unused:UNUSED_PAD src0_sel:WORD_1 src1_sel:DWORD
	v_add_f16_e32 v10, v10, v9
	v_fma_f16 v9, v39, s8, -v41
	v_mul_f16_sdwa v42, v40, s0 dst_sel:DWORD dst_unused:UNUSED_PAD src0_sel:WORD_1 src1_sel:DWORD
	v_add_f16_e32 v9, v9, v8
	v_fma_f16 v8, v39, s5, -v42
	;; [unrolled: 3-line block ×3, first 2 shown]
	v_mul_f16_sdwa v44, v27, s15 dst_sel:DWORD dst_unused:UNUSED_PAD src0_sel:WORD_1 src1_sel:DWORD
	s_mov_b32 s15, 0xb482
	v_add_f16_e32 v10, v10, v13
	v_fma_f16 v11, v26, s6, -v44
	v_pk_mul_f16 v45, v24, s15 op_sel_hi:[1,0]
	v_add_f16_e32 v10, v11, v10
	v_pk_fma_f16 v11, v0, s7, v45 op_sel:[0,0,1] op_sel_hi:[1,0,0] neg_lo:[0,0,1] neg_hi:[0,0,1]
	v_pk_mul_f16 v46, v27, s17 op_sel_hi:[1,0]
	v_pk_add_f16 v11, v11, v13
	v_pk_fma_f16 v47, v26, s8, v46 op_sel:[0,0,1] op_sel_hi:[1,0,0] neg_lo:[0,0,1] neg_hi:[0,0,1]
	v_pk_add_f16 v11, v47, v11
	v_mul_f16_sdwa v47, v32, s16 dst_sel:DWORD dst_unused:UNUSED_PAD src0_sel:WORD_1 src1_sel:DWORD
	v_fma_f16 v48, v31, s8, -v47
	v_add_f16_e32 v10, v48, v10
	v_pk_mul_f16 v48, v32, s0 op_sel_hi:[1,0]
	v_pk_fma_f16 v49, v31, s5, v48 op_sel:[0,0,1] op_sel_hi:[1,0,0] neg_lo:[0,0,1] neg_hi:[0,0,1]
	v_pk_add_f16 v11, v49, v11
	v_mul_f16_sdwa v49, v36, s15 dst_sel:DWORD dst_unused:UNUSED_PAD src0_sel:WORD_1 src1_sel:DWORD
	v_fma_f16 v50, v35, s7, -v49
	v_add_f16_e32 v10, v50, v10
	v_pk_mul_f16 v50, v36, s14 op_sel_hi:[1,0]
	v_pk_fma_f16 v51, v35, s4, v50 op_sel:[0,0,1] op_sel_hi:[1,0,0] neg_lo:[0,0,1] neg_hi:[0,0,1]
	v_mul_f16_sdwa v52, v40, s14 dst_sel:DWORD dst_unused:UNUSED_PAD src0_sel:WORD_1 src1_sel:DWORD
	v_pk_add_f16 v51, v51, v11
	v_fma_f16 v11, v39, s4, -v52
	v_pk_mul_f16 v53, v40, s9 op_sel_hi:[1,0]
	v_add_f16_e32 v11, v11, v10
	v_pk_fma_f16 v10, v39, s6, v53 op_sel:[0,0,1] op_sel_hi:[1,0,0] neg_lo:[0,0,1] neg_hi:[0,0,1]
	v_pk_add_f16 v10, v10, v51
	v_mul_f16_sdwa v51, v24, s16 dst_sel:DWORD dst_unused:UNUSED_PAD src0_sel:WORD_1 src1_sel:DWORD
	v_fma_f16 v54, v0, s8, v51
	v_mul_f16_sdwa v55, v27, s1 dst_sel:DWORD dst_unused:UNUSED_PAD src0_sel:WORD_1 src1_sel:DWORD
	v_add_f16_e32 v54, v54, v13
	v_fma_f16 v56, v26, s4, v55
	v_add_f16_e32 v54, v56, v54
	v_lshrrev_b32_e32 v56, 16, v0
	v_mul_f16_e32 v57, 0xb853, v24
	v_fma_f16 v25, v0, s4, v25
	v_fma_f16 v58, v56, s8, -v57
	v_lshrrev_b32_e32 v59, 16, v26
	v_mul_f16_e32 v60, 0xbb47, v27
	v_fma_f16 v28, v26, s5, v28
	v_add_f16_e32 v25, v25, v13
	v_add_f16_sdwa v58, v58, v13 dst_sel:DWORD dst_unused:UNUSED_PAD src0_sel:DWORD src1_sel:WORD_1
	v_fma_f16 v61, v59, s4, -v60
	v_add_f16_e32 v25, v28, v25
	v_mul_f16_e32 v28, 0xbb47, v24
	v_add_f16_e32 v58, v61, v58
	v_fma_f16 v61, v56, s4, -v28
	v_mul_f16_e32 v62, 0xba0c, v27
	v_add_f16_sdwa v61, v61, v13 dst_sel:DWORD dst_unused:UNUSED_PAD src0_sel:DWORD src1_sel:WORD_1
	v_fma_f16 v63, v59, s5, -v62
	v_add_f16_e32 v61, v63, v61
	v_mul_f16_sdwa v63, v32, s9 dst_sel:DWORD dst_unused:UNUSED_PAD src0_sel:WORD_1 src1_sel:DWORD
	v_fma_f16 v64, v31, s6, v63
	v_add_f16_e32 v54, v64, v54
	v_lshrrev_b32_e32 v64, 16, v31
	v_mul_f16_e32 v65, 0xbbeb, v32
	v_fma_f16 v33, v31, s7, v33
	v_fma_f16 v66, v64, s6, -v65
	v_add_f16_e32 v25, v33, v25
	v_mul_f16_e32 v33, 0x3482, v32
	v_add_f16_e32 v58, v66, v58
	v_fma_f16 v66, v64, s7, -v33
	v_add_f16_e32 v61, v66, v61
	v_mul_f16_sdwa v66, v36, s0 dst_sel:DWORD dst_unused:UNUSED_PAD src0_sel:WORD_1 src1_sel:DWORD
	v_fma_f16 v67, v35, s5, v66
	v_add_f16_e32 v54, v67, v54
	v_lshrrev_b32_e32 v67, 16, v35
	v_mul_f16_e32 v68, 0xba0c, v36
	v_fma_f16 v37, v35, s6, v37
	v_fma_f16 v69, v67, s5, -v68
	v_add_f16_e32 v25, v37, v25
	v_mul_f16_e32 v37, 0x3beb, v36
	v_add_f16_e32 v58, v69, v58
	;; [unrolled: 12-line block ×3, first 2 shown]
	v_fma_f16 v72, v70, s8, -v41
	v_pk_add_f16 v22, v22, v13
	v_add_f16_e32 v61, v72, v61
	v_and_b32_e32 v12, 1, v12
	v_pk_add_f16 v20, v20, v22
	v_pack_b32_f16 v61, v25, v61
	v_mov_b32_e32 v25, 0x2d6
	v_cmp_eq_u32_e64 s[0:1], 1, v12
	v_pk_add_f16 v18, v18, v20
	v_cndmask_b32_e64 v25, 0, v25, s[0:1]
	v_pk_add_f16 v16, v16, v18
	v_pack_b32_f16 v54, v54, v58
	v_lshl_add_u32 v58, v25, 2, 0
	v_pk_add_f16 v14, v14, v16
	v_mad_u32_u24 v72, v7, 44, v58
	v_pk_add_f16 v14, v15, v14
	ds_write2_b32 v72, v54, v61 offset0:1 offset1:2
	v_mul_f16_e32 v54, 0xbbeb, v24
	v_mul_f16_e32 v24, 0xba0c, v24
	v_pk_add_f16 v14, v17, v14
	v_fma_f16 v12, v56, s8, v57
	v_fma_f16 v28, v56, s4, v28
	v_fma_f16 v57, v56, s6, -v54
	v_fma_f16 v54, v56, s6, v54
	v_fma_f16 v61, v56, s5, -v24
	v_fma_f16 v24, v56, s5, v24
	v_pk_add_f16 v14, v19, v14
	v_fma_f16 v15, v0, s8, -v51
	v_fma_f16 v16, v0, s6, v29
	v_fma_f16 v17, v0, s5, v43
	v_pk_fma_f16 v0, v0, s7, v45 op_sel:[0,0,1] op_sel_hi:[1,0,0]
	v_fma_f16 v56, v59, s4, v60
	v_fma_f16 v60, v59, s5, v62
	v_mul_f16_e32 v62, 0x3482, v27
	v_pk_add_f16 v14, v21, v14
	v_add_f16_e32 v15, v15, v13
	v_add_f16_sdwa v12, v12, v13 dst_sel:DWORD dst_unused:UNUSED_PAD src0_sel:DWORD src1_sel:WORD_1
	v_add_f16_sdwa v18, v28, v13 dst_sel:DWORD dst_unused:UNUSED_PAD src0_sel:DWORD src1_sel:WORD_1
	v_add_f16_e32 v16, v16, v13
	v_add_f16_sdwa v19, v57, v13 dst_sel:DWORD dst_unused:UNUSED_PAD src0_sel:DWORD src1_sel:WORD_1
	v_add_f16_sdwa v20, v54, v13 dst_sel:DWORD dst_unused:UNUSED_PAD src0_sel:DWORD src1_sel:WORD_1
	v_add_f16_e32 v17, v17, v13
	v_add_f16_sdwa v21, v61, v13 dst_sel:DWORD dst_unused:UNUSED_PAD src0_sel:DWORD src1_sel:WORD_1
	v_add_f16_sdwa v22, v24, v13 dst_sel:DWORD dst_unused:UNUSED_PAD src0_sel:DWORD src1_sel:WORD_1
	v_pk_add_f16 v0, v0, v13
	v_fma_f16 v13, v26, s4, -v55
	v_fma_f16 v73, v59, s7, -v62
	v_fma_f16 v62, v59, s7, v62
	v_mul_f16_e32 v27, 0x3beb, v27
	v_add_f16_e32 v13, v13, v15
	v_add_f16_e32 v15, v60, v18
	v_fma_f16 v18, v26, s7, v30
	v_fma_f16 v74, v59, s6, -v27
	v_fma_f16 v27, v59, s6, v27
	v_add_f16_e32 v16, v18, v16
	v_add_f16_e32 v18, v73, v19
	;; [unrolled: 1-line block ×3, first 2 shown]
	v_fma_f16 v20, v26, s6, v44
	v_add_f16_e32 v17, v20, v17
	v_add_f16_e32 v20, v74, v21
	;; [unrolled: 1-line block ×3, first 2 shown]
	v_pk_fma_f16 v22, v26, s8, v46 op_sel:[0,0,1] op_sel_hi:[1,0,0]
	v_pk_add_f16 v0, v22, v0
	v_fma_f16 v22, v31, s6, -v63
	v_add_f16_e32 v13, v22, v13
	v_fma_f16 v22, v31, s4, v34
	v_add_f16_e32 v16, v22, v16
	v_fma_f16 v22, v31, s8, v47
	v_fma_f16 v59, v64, s6, v65
	v_mul_f16_e32 v65, 0x3b47, v32
	v_mul_f16_e32 v32, 0xb853, v32
	v_add_f16_e32 v17, v22, v17
	v_pk_fma_f16 v22, v31, s5, v48 op_sel:[0,0,1] op_sel_hi:[1,0,0]
	v_fma_f16 v33, v64, s7, v33
	v_fma_f16 v75, v64, s4, -v65
	v_fma_f16 v65, v64, s4, v65
	v_fma_f16 v76, v64, s8, -v32
	v_fma_f16 v32, v64, s8, v32
	v_fma_f16 v64, v67, s5, v68
	v_mul_f16_e32 v68, 0xb853, v36
	v_add_f16_e32 v12, v56, v12
	v_pk_add_f16 v0, v22, v0
	v_fma_f16 v22, v35, s5, -v66
	v_fma_f16 v77, v67, s8, -v68
	v_fma_f16 v68, v67, s8, v68
	v_mul_f16_e32 v36, 0xb482, v36
	v_add_f16_e32 v12, v59, v12
	v_add_f16_e32 v19, v65, v19
	;; [unrolled: 1-line block ×3, first 2 shown]
	v_fma_f16 v22, v35, s8, v38
	v_fma_f16 v37, v67, s6, v37
	v_fma_f16 v78, v67, s7, -v36
	v_fma_f16 v36, v67, s7, v36
	v_fma_f16 v67, v70, s7, v71
	v_add_f16_e32 v15, v33, v15
	v_add_f16_e32 v20, v76, v20
	;; [unrolled: 1-line block ×5, first 2 shown]
	v_fma_f16 v19, v35, s7, v49
	v_fma_f16 v41, v70, s8, v41
	v_mul_f16_e32 v71, 0xba0c, v40
	v_mul_f16_e32 v40, 0x3b47, v40
	v_pk_add_f16 v14, v23, v14
	v_add_f16_e32 v18, v75, v18
	v_add_f16_e32 v15, v37, v15
	;; [unrolled: 1-line block ×4, first 2 shown]
	v_pk_fma_f16 v19, v35, s4, v50 op_sel:[0,0,1] op_sel_hi:[1,0,0]
	v_add_f16_e32 v20, v67, v12
	v_fma_f16 v12, v39, s5, v42
	v_fma_f16 v79, v70, s5, -v71
	v_fma_f16 v80, v70, s4, -v40
	v_add_f16_e32 v18, v77, v18
	v_pk_add_f16 v0, v19, v0
	v_add_f16_e32 v19, v41, v15
	v_add_f16_e32 v15, v12, v16
	v_fma_f16 v12, v39, s4, v52
	v_add_f16_e32 v21, v32, v21
	v_add_f16_e32 v16, v79, v18
	;; [unrolled: 1-line block ×4, first 2 shown]
	v_fma_f16 v12, v39, s7, -v69
	v_pk_fma_f16 v23, v39, s6, v53 op_sel:[0,0,1] op_sel_hi:[1,0,0]
	v_fma_f16 v71, v70, s5, v71
	v_fma_f16 v40, v70, s4, v40
	v_add_f16_e32 v21, v36, v21
	v_pk_add_f16 v23, v23, v0
	v_add_f16_e32 v12, v12, v13
	v_pack_b32_f16 v0, v17, v18
	v_pack_b32_f16 v13, v15, v16
	s_mov_b32 s0, 0xffff
	v_add_f16_e32 v22, v71, v22
	v_add_f16_e32 v21, v40, v21
	ds_write2_b32 v72, v13, v0 offset0:3 offset1:4
	v_bfi_b32 v0, s0, v10, v23
	v_bfi_b32 v13, s0, v23, v10
	ds_write2_b32 v72, v13, v0 offset0:5 offset1:6
	v_pack_b32_f16 v0, v8, v22
	v_pack_b32_f16 v13, v11, v21
	ds_write2_b32 v72, v13, v0 offset0:7 offset1:8
	v_pack_b32_f16 v0, v12, v20
	v_pack_b32_f16 v13, v9, v19
	s_movk_i32 s0, 0xffd8
	ds_write2_b32 v72, v13, v0 offset0:9 offset1:10
	v_lshl_add_u32 v18, v7, 2, v58
	v_mad_i32_i24 v0, v7, s0, v72
	ds_write_b32 v72, v14
	s_load_dwordx2 s[2:3], s[2:3], 0x0
	s_waitcnt lgkmcnt(0)
	s_barrier
	v_add_u32_e32 v28, 0x400, v0
	ds_read_b32 v26, v18
	ds_read_b32 v27, v0 offset:2420
	ds_read2_b32 v[16:17], v0 offset0:121 offset1:242
	ds_read2_b32 v[14:15], v28 offset0:107 offset1:228
	v_lshrrev_b32_e32 v23, 16, v23
	v_cmp_gt_u32_e64 s[0:1], 55, v7
                                        ; implicit-def: $vgpr24
	s_and_saveexec_b64 s[4:5], s[0:1]
	s_cbranch_execz .LBB0_15
; %bb.14:
	ds_read2_b32 v[10:11], v0 offset0:66 offset1:187
	v_add_u32_e32 v8, 0x800, v0
	ds_read2_b32 v[12:13], v8 offset0:38 offset1:159
	ds_read2_b32 v[8:9], v28 offset0:52 offset1:173
	ds_read_u16 v19, v0 offset:1718
	s_waitcnt lgkmcnt(2)
	v_lshrrev_b32_e32 v20, 16, v12
	v_lshrrev_b32_e32 v23, 16, v10
	v_lshrrev_b32_e32 v24, 16, v13
	v_lshrrev_b32_e32 v21, 16, v11
	s_waitcnt lgkmcnt(1)
	v_lshrrev_b32_e32 v22, 16, v8
.LBB0_15:
	s_or_b64 exec, exec, s[4:5]
	s_movk_i32 s8, 0x75
	v_mul_lo_u16_sdwa v28, v7, s8 dst_sel:DWORD dst_unused:UNUSED_PAD src0_sel:BYTE_0 src1_sel:DWORD
	v_sub_u16_sdwa v29, v7, v28 dst_sel:DWORD dst_unused:UNUSED_PAD src0_sel:DWORD src1_sel:BYTE_1
	v_lshrrev_b16_e32 v29, 1, v29
	v_and_b32_e32 v29, 0x7f, v29
	v_add_u16_sdwa v28, v29, v28 dst_sel:DWORD dst_unused:UNUSED_PAD src0_sel:DWORD src1_sel:BYTE_1
	v_lshrrev_b16_e32 v34, 3, v28
	v_mul_lo_u16_e32 v28, 11, v34
	v_sub_u16_e32 v35, v7, v28
	v_mov_b32_e32 v28, 5
	v_mul_u32_u24_sdwa v29, v35, v28 dst_sel:DWORD dst_unused:UNUSED_PAD src0_sel:BYTE_0 src1_sel:DWORD
	v_lshlrev_b32_e32 v29, 2, v29
	global_load_dwordx4 v[30:33], v29, s[12:13]
	global_load_dword v36, v29, s[12:13] offset:16
	s_movk_i32 s9, 0x108
	v_mov_b32_e32 v29, 2
	s_waitcnt lgkmcnt(1)
	v_lshrrev_b32_e32 v38, 16, v16
	s_waitcnt lgkmcnt(0)
	v_lshrrev_b32_e32 v40, 16, v14
	v_lshlrev_b32_e32 v25, 2, v25
	v_mad_u32_u24 v34, v34, s9, 0
	v_lshlrev_b32_sdwa v35, v29, v35 dst_sel:DWORD dst_unused:UNUSED_PAD src0_sel:DWORD src1_sel:BYTE_0
	v_lshrrev_b32_e32 v39, 16, v17
	v_lshrrev_b32_e32 v41, 16, v15
	;; [unrolled: 1-line block ×3, first 2 shown]
	v_add3_u32 v34, v34, v35, v25
	v_lshrrev_b32_e32 v37, 16, v26
	s_movk_i32 s6, 0x3aee
	s_mov_b32 s7, 0xbaee
	s_waitcnt vmcnt(0)
	s_barrier
	v_mul_f16_sdwa v35, v30, v38 dst_sel:DWORD dst_unused:UNUSED_PAD src0_sel:WORD_1 src1_sel:DWORD
	v_mul_f16_sdwa v43, v30, v16 dst_sel:DWORD dst_unused:UNUSED_PAD src0_sel:WORD_1 src1_sel:DWORD
	;; [unrolled: 1-line block ×10, first 2 shown]
	v_fma_f16 v16, v30, v16, v35
	v_fma_f16 v30, v30, v38, -v43
	v_fma_f16 v14, v32, v14, v46
	v_fma_f16 v32, v32, v40, -v47
	v_fma_f16 v35, v36, v42, -v51
	v_fma_f16 v17, v31, v17, v44
	v_fma_f16 v31, v31, v39, -v45
	v_fma_f16 v15, v33, v15, v48
	;; [unrolled: 2-line block ×3, first 2 shown]
	v_sub_f16_e32 v43, v32, v35
	v_add_f16_e32 v44, v30, v32
	v_add_f16_e32 v32, v32, v35
	;; [unrolled: 1-line block ×3, first 2 shown]
	v_sub_f16_e32 v39, v31, v33
	v_add_f16_e32 v40, v37, v31
	v_add_f16_e32 v31, v31, v33
	;; [unrolled: 1-line block ×4, first 2 shown]
	v_sub_f16_e32 v14, v14, v27
	v_fma_f16 v30, v32, -0.5, v30
	v_add_f16_e32 v38, v17, v15
	v_sub_f16_e32 v17, v17, v15
	v_add_f16_e32 v15, v36, v15
	v_add_f16_e32 v33, v40, v33
	v_fma_f16 v31, v31, -0.5, v37
	v_add_f16_e32 v27, v41, v27
	v_fma_f16 v16, v42, -0.5, v16
	v_add_f16_e32 v35, v44, v35
	v_fma_f16 v37, v14, s6, v30
	v_fma_f16 v26, v38, -0.5, v26
	v_fma_f16 v36, v17, s6, v31
	v_fma_f16 v17, v17, s7, v31
	;; [unrolled: 1-line block ×4, first 2 shown]
	v_add_f16_e32 v30, v15, v27
	v_add_f16_e32 v38, v33, v35
	v_sub_f16_e32 v15, v15, v27
	v_sub_f16_e32 v27, v33, v35
	v_mul_f16_e32 v33, 0xbaee, v37
	v_mul_f16_e32 v37, 0.5, v37
	v_fma_f16 v32, v39, s7, v26
	v_fma_f16 v16, v43, s6, v16
	v_mul_f16_e32 v35, 0xbaee, v14
	v_mul_f16_e32 v14, -0.5, v14
	v_fma_f16 v33, v31, 0.5, v33
	v_fma_f16 v31, v31, s6, v37
	v_fma_f16 v26, v39, s6, v26
	v_fma_f16 v35, v16, -0.5, v35
	v_fma_f16 v14, v16, s6, v14
	v_add_f16_e32 v16, v32, v33
	v_add_f16_e32 v39, v36, v31
	;; [unrolled: 1-line block ×4, first 2 shown]
	v_sub_f16_e32 v14, v17, v14
	v_pack_b32_f16 v17, v30, v38
	v_pack_b32_f16 v16, v16, v39
	v_sub_f16_e32 v32, v32, v33
	v_sub_f16_e32 v26, v26, v35
	;; [unrolled: 1-line block ×3, first 2 shown]
	ds_write2_b32 v34, v17, v16 offset1:11
	v_pack_b32_f16 v16, v37, v40
	v_pack_b32_f16 v15, v15, v27
	ds_write2_b32 v34, v16, v15 offset0:22 offset1:33
	v_pack_b32_f16 v15, v32, v31
	v_pack_b32_f16 v14, v26, v14
	ds_write2_b32 v34, v15, v14 offset0:44 offset1:55
	s_and_saveexec_b64 s[4:5], s[0:1]
	s_cbranch_execz .LBB0_17
; %bb.16:
	v_add_u16_e32 v14, 0x42, v7
	v_mul_lo_u16_sdwa v15, v14, s8 dst_sel:DWORD dst_unused:UNUSED_PAD src0_sel:BYTE_0 src1_sel:DWORD
	v_sub_u16_sdwa v16, v14, v15 dst_sel:DWORD dst_unused:UNUSED_PAD src0_sel:DWORD src1_sel:BYTE_1
	v_lshrrev_b16_e32 v16, 1, v16
	v_and_b32_e32 v16, 0x7f, v16
	v_add_u16_sdwa v15, v16, v15 dst_sel:DWORD dst_unused:UNUSED_PAD src0_sel:DWORD src1_sel:BYTE_1
	v_lshrrev_b16_e32 v26, 3, v15
	v_mul_lo_u16_e32 v15, 11, v26
	v_sub_u16_e32 v27, v14, v15
	v_mul_u32_u24_sdwa v14, v27, v28 dst_sel:DWORD dst_unused:UNUSED_PAD src0_sel:BYTE_0 src1_sel:DWORD
	v_lshlrev_b32_e32 v28, 2, v14
	global_load_dwordx4 v[14:17], v28, s[12:13]
	global_load_dword v30, v28, s[12:13] offset:16
	v_mad_u32_u24 v26, v26, s9, 0
	v_lshlrev_b32_sdwa v27, v29, v27 dst_sel:DWORD dst_unused:UNUSED_PAD src0_sel:DWORD src1_sel:BYTE_0
	v_add3_u32 v25, v26, v27, v25
	s_waitcnt vmcnt(1)
	v_mul_f16_sdwa v26, v8, v15 dst_sel:DWORD dst_unused:UNUSED_PAD src0_sel:DWORD src1_sel:WORD_1
	v_mul_f16_sdwa v28, v22, v15 dst_sel:DWORD dst_unused:UNUSED_PAD src0_sel:DWORD src1_sel:WORD_1
	;; [unrolled: 1-line block ×4, first 2 shown]
	s_waitcnt vmcnt(0)
	v_mul_f16_sdwa v35, v13, v30 dst_sel:DWORD dst_unused:UNUSED_PAD src0_sel:DWORD src1_sel:WORD_1
	v_mul_f16_sdwa v27, v12, v17 dst_sel:DWORD dst_unused:UNUSED_PAD src0_sel:DWORD src1_sel:WORD_1
	;; [unrolled: 1-line block ×6, first 2 shown]
	v_fma_f16 v22, v22, v15, -v26
	v_fma_f16 v8, v8, v15, v28
	v_fma_f16 v9, v9, v16, v32
	v_fma_f16 v15, v19, v16, -v34
	v_fma_f16 v16, v24, v30, -v35
	v_fma_f16 v20, v20, v17, -v27
	v_fma_f16 v12, v12, v17, v29
	v_fma_f16 v11, v11, v14, v31
	;; [unrolled: 1-line block ×3, first 2 shown]
	v_fma_f16 v14, v21, v14, -v36
	v_add_f16_e32 v26, v15, v16
	v_add_f16_e32 v17, v22, v20
	v_sub_f16_e32 v19, v8, v12
	v_add_f16_e32 v21, v9, v13
	v_sub_f16_e32 v24, v15, v16
	v_sub_f16_e32 v27, v9, v13
	v_add_f16_e32 v28, v23, v22
	v_add_f16_e32 v15, v14, v15
	;; [unrolled: 1-line block ×5, first 2 shown]
	v_fma_f16 v14, v26, -0.5, v14
	v_sub_f16_e32 v22, v22, v20
	v_fma_f16 v17, v17, -0.5, v23
	v_fma_f16 v11, v21, -0.5, v11
	v_add_f16_e32 v20, v28, v20
	v_add_f16_e32 v15, v15, v16
	v_fma_f16 v10, v29, -0.5, v10
	v_add_f16_e32 v8, v8, v12
	v_add_f16_e32 v9, v9, v13
	v_fma_f16 v16, v27, s7, v14
	v_fma_f16 v14, v27, s6, v14
	;; [unrolled: 1-line block ×6, first 2 shown]
	v_sub_f16_e32 v19, v20, v15
	v_fma_f16 v21, v22, s6, v10
	v_fma_f16 v10, v22, s7, v10
	v_sub_f16_e32 v22, v8, v9
	v_add_f16_e32 v15, v20, v15
	v_add_f16_e32 v8, v8, v9
	v_mul_f16_e32 v9, -0.5, v16
	v_mul_f16_e32 v20, 0.5, v14
	v_mul_f16_e32 v14, 0xbaee, v14
	v_mul_f16_e32 v16, 0xbaee, v16
	v_pack_b32_f16 v8, v8, v15
	v_pack_b32_f16 v15, v22, v19
	v_fma_f16 v9, v13, s6, v9
	v_fma_f16 v19, v11, s6, v20
	v_fma_f16 v11, v11, 0.5, v14
	v_fma_f16 v13, v13, -0.5, v16
	v_sub_f16_e32 v14, v12, v9
	v_sub_f16_e32 v22, v10, v11
	v_add_f16_e32 v9, v12, v9
	v_add_f16_e32 v12, v17, v19
	;; [unrolled: 1-line block ×3, first 2 shown]
	v_sub_f16_e32 v16, v17, v19
	v_sub_f16_e32 v20, v21, v13
	v_add_f16_e32 v13, v21, v13
	v_pack_b32_f16 v10, v10, v12
	v_pack_b32_f16 v9, v13, v9
	;; [unrolled: 1-line block ×4, first 2 shown]
	ds_write2_b32 v25, v8, v10 offset1:11
	ds_write2_b32 v25, v9, v15 offset0:22 offset1:33
	ds_write2_b32 v25, v11, v12 offset0:44 offset1:55
.LBB0_17:
	s_or_b64 exec, exec, s[4:5]
	s_waitcnt lgkmcnt(0)
	s_barrier
	s_and_saveexec_b64 s[0:1], vcc
	s_cbranch_execz .LBB0_19
; %bb.18:
	v_mul_u32_u24_e32 v7, 10, v7
	v_lshlrev_b32_e32 v17, 2, v7
	global_load_dwordx2 v[15:16], v17, s[12:13] offset:252
	global_load_dwordx4 v[7:10], v17, s[12:13] offset:220
	global_load_dwordx4 v[11:14], v17, s[12:13] offset:236
	ds_read2_b32 v[19:20], v0 offset0:66 offset1:132
	v_mul_lo_u32 v27, s3, v5
	v_mul_lo_u32 v28, s2, v6
	v_mad_u64_u32 v[5:6], s[0:1], s2, v5, 0
	v_add_u32_e32 v17, 0x800, v0
	v_add_u32_e32 v21, 0x600, v0
	v_add_u32_e32 v23, 0x200, v0
	v_add_u32_e32 v25, 0x400, v0
	ds_read_b32 v29, v18
	ds_read_u16 v0, v0 offset:1322
	ds_read2_b32 v[17:18], v17 offset0:82 offset1:148
	ds_read2_b32 v[21:22], v21 offset0:78 offset1:144
	;; [unrolled: 1-line block ×4, first 2 shown]
	v_add3_u32 v6, v6, v28, v27
	s_waitcnt lgkmcnt(6)
	v_lshrrev_b32_e32 v27, 16, v19
	s_waitcnt lgkmcnt(3)
	v_lshrrev_b32_e32 v30, 16, v18
	v_lshrrev_b32_e32 v28, 16, v20
	;; [unrolled: 1-line block ×3, first 2 shown]
	s_waitcnt lgkmcnt(2)
	v_lshrrev_b32_e32 v34, 16, v21
	s_waitcnt lgkmcnt(1)
	v_lshrrev_b32_e32 v35, 16, v24
	v_lshrrev_b32_e32 v32, 16, v22
	;; [unrolled: 1-line block ×3, first 2 shown]
	s_movk_i32 s4, 0x3482
	s_mov_b32 s2, 0xb853
	s_movk_i32 s9, 0x3a0c
	s_mov_b32 s7, 0xbb47
	;; [unrolled: 2-line block ×5, first 2 shown]
	s_mov_b32 s14, 0xbbeb
	s_movk_i32 s13, 0x3853
	s_mov_b32 s8, 0xb482
	s_movk_i32 s15, 0x3b47
	v_lshlrev_b64 v[5:6], 2, v[5:6]
	v_add_co_u32_e32 v5, vcc, s10, v5
	s_waitcnt vmcnt(2)
	v_lshrrev_b32_e32 v37, 16, v16
	v_lshrrev_b32_e32 v36, 16, v15
	s_waitcnt vmcnt(1)
	v_mul_f16_sdwa v38, v7, v19 dst_sel:DWORD dst_unused:UNUSED_PAD src0_sel:WORD_1 src1_sel:DWORD
	v_mul_f16_e32 v40, v16, v18
	s_waitcnt vmcnt(0)
	v_lshrrev_b32_e32 v46, 16, v13
	v_mul_f16_e32 v18, v37, v18
	v_mul_f16_sdwa v39, v7, v27 dst_sel:DWORD dst_unused:UNUSED_PAD src0_sel:WORD_1 src1_sel:DWORD
	v_mul_f16_sdwa v41, v8, v20 dst_sel:DWORD dst_unused:UNUSED_PAD src0_sel:WORD_1 src1_sel:DWORD
	v_mul_f16_e32 v43, v15, v17
	v_lshrrev_b32_e32 v47, 16, v14
	v_mul_f16_e32 v53, v13, v21
	v_fma_f16 v27, v7, v27, -v38
	v_mul_f16_e32 v17, v36, v17
	v_mul_f16_e32 v21, v46, v21
	v_fma_f16 v16, v16, v30, -v18
	v_mul_f16_sdwa v42, v8, v28 dst_sel:DWORD dst_unused:UNUSED_PAD src0_sel:WORD_1 src1_sel:DWORD
	v_mul_f16_sdwa v48, v9, v23 dst_sel:DWORD dst_unused:UNUSED_PAD src0_sel:WORD_1 src1_sel:DWORD
	v_mul_f16_e32 v50, v14, v22
	v_mul_f16_sdwa v51, v10, v24 dst_sel:DWORD dst_unused:UNUSED_PAD src0_sel:WORD_1 src1_sel:DWORD
	v_mul_f16_sdwa v52, v10, v35 dst_sel:DWORD dst_unused:UNUSED_PAD src0_sel:WORD_1 src1_sel:DWORD
	v_fma_f16 v7, v7, v19, v39
	v_fma_f16 v19, v30, v37, v40
	v_fma_f16 v28, v8, v28, -v41
	v_mul_f16_e32 v22, v47, v22
	v_fma_f16 v15, v15, v31, -v17
	v_fma_f16 v13, v13, v34, -v21
	v_add_f16_e32 v21, v16, v27
	v_mul_f16_sdwa v49, v9, v33 dst_sel:DWORD dst_unused:UNUSED_PAD src0_sel:WORD_1 src1_sel:DWORD
	v_fma_f16 v8, v8, v20, v42
	v_fma_f16 v20, v31, v36, v43
	v_fma_f16 v33, v9, v33, -v48
	v_fma_f16 v35, v10, v35, -v51
	v_fma_f16 v10, v10, v24, v52
	v_fma_f16 v24, v34, v46, v53
	v_sub_f16_e32 v18, v7, v19
	v_fma_f16 v14, v14, v32, -v22
	v_add_f16_e32 v30, v15, v28
	v_mul_f16_e32 v34, 0xbbad, v21
	v_fma_f16 v9, v9, v23, v49
	v_fma_f16 v23, v32, v47, v50
	v_sub_f16_e32 v17, v8, v20
	v_add_f16_e32 v31, v14, v33
	v_mul_f16_e32 v36, 0x3abb, v30
	v_fma_f16 v39, v18, s4, v34
	v_sub_f16_e32 v22, v9, v23
	v_add_f16_e32 v32, v13, v35
	v_mul_f16_e32 v37, 0xb93d, v31
	v_fma_f16 v40, v17, s2, v36
	v_add_f16_sdwa v39, v39, v29 dst_sel:DWORD dst_unused:UNUSED_PAD src0_sel:DWORD src1_sel:WORD_1
	v_lshrrev_b32_e32 v44, 16, v11
	v_mul_f16_e32 v38, 0x36a6, v32
	v_fma_f16 v41, v22, s9, v37
	v_add_f16_e32 v39, v39, v40
	v_sub_f16_e32 v40, v10, v24
	v_lshrrev_b32_e32 v45, 16, v12
	v_add_f16_e32 v39, v39, v41
	v_fma_f16 v41, v40, s7, v38
	s_waitcnt lgkmcnt(0)
	v_mul_f16_e32 v43, v44, v25
	v_add_f16_e32 v39, v39, v41
	v_lshrrev_b32_e32 v41, 16, v26
	v_mul_f16_e32 v42, v45, v26
	v_fma_f16 v43, v11, v0, -v43
	v_mul_f16_e32 v11, v11, v25
	v_fma_f16 v42, v12, v41, -v42
	v_fma_f16 v0, v0, v44, v11
	v_mul_f16_e32 v11, v12, v26
	v_add_f16_e32 v46, v42, v43
	v_fma_f16 v11, v41, v45, v11
	v_mul_f16_e32 v47, 0xb08e, v46
	v_sub_f16_e32 v12, v0, v11
	v_fma_f16 v25, v12, s12, v47
	v_add_f16_e32 v25, v39, v25
	v_sub_f16_e32 v39, v27, v16
	v_add_f16_e32 v26, v19, v7
	v_mul_f16_e32 v41, 0xb482, v39
	v_sub_f16_e32 v48, v28, v15
	v_fma_f16 v44, v26, s0, v41
	v_add_f16_e32 v45, v20, v8
	v_mul_f16_e32 v49, 0x3853, v48
	v_add_f16_e32 v44, v44, v29
	v_fma_f16 v50, v45, s1, v49
	v_sub_f16_e32 v51, v33, v14
	v_add_f16_e32 v44, v44, v50
	v_add_f16_e32 v50, v23, v9
	v_mul_f16_e32 v52, 0xba0c, v51
	v_fma_f16 v53, v50, s3, v52
	v_sub_f16_e32 v54, v35, v13
	v_add_f16_e32 v44, v44, v53
	v_add_f16_e32 v53, v24, v10
	v_mul_f16_e32 v55, 0x3b47, v54
	;; [unrolled: 5-line block ×3, first 2 shown]
	v_fma_f16 v59, v56, s6, v58
	v_add_f16_e32 v44, v44, v59
	v_mul_f16_e32 v59, 0xb93d, v21
	v_fma_f16 v60, v18, s9, v59
	v_mul_f16_e32 v61, 0xb08e, v30
	v_add_f16_sdwa v60, v60, v29 dst_sel:DWORD dst_unused:UNUSED_PAD src0_sel:DWORD src1_sel:WORD_1
	v_fma_f16 v62, v17, s14, v61
	v_add_f16_e32 v60, v60, v62
	v_mul_f16_e32 v62, 0x3abb, v31
	v_fma_f16 v63, v22, s13, v62
	v_add_f16_e32 v60, v60, v63
	v_mul_f16_e32 v63, 0xbbad, v32
	;; [unrolled: 3-line block ×4, first 2 shown]
	v_fma_f16 v66, v26, s3, v65
	v_mul_f16_e32 v67, 0x3beb, v48
	v_add_f16_e32 v66, v66, v29
	v_fma_f16 v68, v45, s6, v67
	v_add_f16_e32 v66, v66, v68
	v_mul_f16_e32 v68, 0xb853, v51
	v_fma_f16 v69, v50, s1, v68
	v_add_f16_e32 v66, v66, v69
	v_mul_f16_e32 v69, 0xb482, v54
	;; [unrolled: 3-line block ×4, first 2 shown]
	v_fma_f16 v72, v18, s12, v71
	v_mul_f16_e32 v73, 0xbbad, v30
	v_add_f16_sdwa v72, v72, v29 dst_sel:DWORD dst_unused:UNUSED_PAD src0_sel:DWORD src1_sel:WORD_1
	v_fma_f16 v74, v17, s8, v73
	v_add_f16_e32 v72, v72, v74
	v_mul_f16_e32 v74, 0x36a6, v31
	v_fma_f16 v75, v22, s7, v74
	v_add_f16_e32 v72, v72, v75
	v_mul_f16_e32 v75, 0x3abb, v32
	;; [unrolled: 3-line block ×4, first 2 shown]
	v_fma_f16 v78, v26, s6, v77
	v_mul_f16_e32 v79, 0x3482, v48
	v_add_f16_e32 v78, v78, v29
	v_fma_f16 v80, v45, s0, v79
	v_add_f16_e32 v78, v78, v80
	v_mul_f16_e32 v80, 0x3b47, v51
	v_fma_f16 v81, v50, s5, v80
	v_add_f16_e32 v78, v78, v81
	v_mul_f16_e32 v81, 0xb853, v54
	;; [unrolled: 3-line block ×4, first 2 shown]
	v_fma_f16 v84, v18, s15, v83
	v_mul_f16_e32 v85, 0xb93d, v30
	v_add_f16_sdwa v84, v84, v29 dst_sel:DWORD dst_unused:UNUSED_PAD src0_sel:DWORD src1_sel:WORD_1
	v_fma_f16 v86, v17, s9, v85
	v_add_f16_e32 v7, v7, v29
	v_add_f16_e32 v84, v84, v86
	v_mul_f16_e32 v86, 0xbbad, v31
	v_add_f16_e32 v7, v7, v8
	v_fma_f16 v87, v22, s8, v86
	v_add_f16_e32 v7, v7, v9
	v_add_f16_e32 v84, v84, v87
	v_mul_f16_e32 v87, 0xb08e, v32
	v_add_f16_e32 v7, v7, v10
	;; [unrolled: 5-line block ×4, first 2 shown]
	v_fma_f16 v90, v26, s5, v89
	v_mul_f16_e32 v91, 0xba0c, v48
	v_add_f16_e32 v0, v20, v0
	v_add_f16_e32 v90, v90, v29
	v_fma_f16 v92, v45, s3, v91
	v_add_f16_e32 v7, v19, v0
	v_add_f16_sdwa v0, v27, v29 dst_sel:DWORD dst_unused:UNUSED_PAD src0_sel:DWORD src1_sel:WORD_1
	v_add_f16_e32 v90, v90, v92
	v_mul_f16_e32 v92, 0x3482, v51
	v_add_f16_e32 v0, v0, v28
	v_fma_f16 v93, v50, s0, v92
	v_add_f16_e32 v0, v0, v33
	v_add_f16_e32 v90, v90, v93
	v_mul_f16_e32 v93, 0x3beb, v54
	v_add_f16_e32 v0, v0, v35
	v_fma_f16 v94, v53, s6, v93
	v_add_f16_e32 v0, v0, v43
	v_add_f16_e32 v90, v90, v94
	v_mul_f16_e32 v94, 0x3853, v57
	v_add_f16_e32 v0, v42, v0
	v_fma_f16 v95, v56, s1, v94
	v_mul_f16_e32 v21, 0x3abb, v21
	v_add_f16_e32 v0, v13, v0
	v_add_f16_e32 v90, v90, v95
	v_fma_f16 v95, v18, s13, v21
	v_mul_f16_e32 v30, 0x36a6, v30
	v_add_f16_e32 v0, v14, v0
	v_add_f16_sdwa v95, v95, v29 dst_sel:DWORD dst_unused:UNUSED_PAD src0_sel:DWORD src1_sel:WORD_1
	v_fma_f16 v96, v17, s15, v30
	v_mul_f16_e32 v31, 0xb08e, v31
	v_add_f16_e32 v0, v15, v0
	v_add_f16_e32 v95, v95, v96
	v_fma_f16 v96, v22, s12, v31
	v_mul_f16_e32 v32, 0xb93d, v32
	v_add_f16_e32 v8, v16, v0
	v_fma_f16 v0, v18, s8, v34
	v_add_f16_e32 v95, v95, v96
	v_fma_f16 v96, v40, s9, v32
	v_add_f16_sdwa v0, v0, v29 dst_sel:DWORD dst_unused:UNUSED_PAD src0_sel:DWORD src1_sel:WORD_1
	v_fma_f16 v9, v17, s13, v36
	s_mov_b32 s9, 0xba0c
	v_add_f16_e32 v0, v0, v9
	v_fma_f16 v9, v22, s9, v37
	v_add_f16_e32 v0, v0, v9
	v_fma_f16 v9, v40, s15, v38
	v_add_f16_e32 v0, v0, v9
	v_fma_f16 v9, v12, s14, v47
	v_add_f16_e32 v9, v0, v9
	v_fma_f16 v0, v26, s0, -v41
	v_add_f16_e32 v0, v0, v29
	v_fma_f16 v10, v45, s1, -v49
	v_add_f16_e32 v0, v0, v10
	v_fma_f16 v10, v50, s3, -v52
	v_add_f16_e32 v0, v0, v10
	v_fma_f16 v10, v53, s5, -v55
	v_add_f16_e32 v0, v0, v10
	v_fma_f16 v10, v56, s6, -v58
	v_add_f16_e32 v10, v0, v10
	v_fma_f16 v0, v18, s9, v59
	v_add_f16_sdwa v0, v0, v29 dst_sel:DWORD dst_unused:UNUSED_PAD src0_sel:DWORD src1_sel:WORD_1
	v_fma_f16 v11, v17, s12, v61
	v_add_f16_e32 v0, v0, v11
	v_fma_f16 v11, v22, s2, v62
	v_add_f16_e32 v0, v0, v11
	v_fma_f16 v11, v40, s8, v63
	v_add_f16_e32 v0, v0, v11
	v_fma_f16 v11, v12, s15, v64
	v_add_f16_e32 v11, v0, v11
	v_fma_f16 v0, v26, s3, -v65
	v_add_f16_e32 v0, v0, v29
	v_fma_f16 v13, v45, s6, -v67
	v_add_f16_e32 v0, v0, v13
	v_fma_f16 v13, v50, s1, -v68
	v_add_f16_e32 v0, v0, v13
	v_fma_f16 v13, v53, s0, -v69
	v_add_f16_e32 v0, v0, v13
	v_fma_f16 v13, v56, s5, -v70
	v_add_f16_e32 v13, v0, v13
	v_fma_f16 v0, v18, s14, v71
	v_add_f16_sdwa v0, v0, v29 dst_sel:DWORD dst_unused:UNUSED_PAD src0_sel:DWORD src1_sel:WORD_1
	v_fma_f16 v14, v17, s4, v73
	;; [unrolled: 20-line block ×4, first 2 shown]
	v_add_f16_e32 v0, v0, v17
	v_fma_f16 v17, v22, s14, v31
	v_mul_f16_e32 v46, 0xbbad, v46
	v_add_f16_e32 v0, v0, v17
	v_fma_f16 v17, v40, s9, v32
	v_add_f16_e32 v95, v95, v96
	v_fma_f16 v96, v12, s4, v46
	v_mul_f16_e32 v39, 0xb853, v39
	v_add_f16_e32 v0, v0, v17
	v_fma_f16 v12, v12, s8, v46
	v_mul_f16_e32 v48, 0xbb47, v48
	v_add_f16_e32 v12, v0, v12
	v_fma_f16 v0, v26, s1, -v39
	v_mul_f16_e32 v51, 0xbbeb, v51
	v_add_f16_e32 v0, v0, v29
	v_fma_f16 v17, v45, s5, -v48
	;; [unrolled: 3-line block ×4, first 2 shown]
	v_add_f16_e32 v0, v0, v17
	v_fma_f16 v17, v56, s0, -v57
	v_add_f16_e32 v17, v0, v17
	v_mov_b32_e32 v0, s11
	v_addc_co_u32_e32 v6, vcc, v0, v6, vcc
	v_lshlrev_b64 v[0:1], 2, v[1:2]
	v_add_f16_e32 v95, v95, v96
	v_fma_f16 v96, v26, s1, v39
	v_add_f16_e32 v96, v96, v29
	v_fma_f16 v97, v45, s5, v48
	v_add_co_u32_e32 v2, vcc, v5, v0
	v_add_f16_e32 v96, v96, v97
	v_fma_f16 v97, v50, s6, v51
	v_addc_co_u32_e32 v5, vcc, v6, v1, vcc
	v_lshlrev_b64 v[0:1], 2, v[3:4]
	v_add_f16_e32 v96, v96, v97
	v_fma_f16 v97, v53, s3, v54
	v_add_f16_e32 v96, v96, v97
	v_fma_f16 v97, v56, s0, v57
	v_add_co_u32_e32 v0, vcc, v2, v0
	v_add_f16_e32 v96, v96, v97
	v_addc_co_u32_e32 v1, vcc, v5, v1, vcc
	v_pack_b32_f16 v2, v7, v8
	global_store_dword v[0:1], v2, off
	v_pack_b32_f16 v2, v96, v95
	global_store_dword v[0:1], v2, off offset:264
	v_pack_b32_f16 v2, v90, v84
	global_store_dword v[0:1], v2, off offset:528
	;; [unrolled: 2-line block ×10, first 2 shown]
.LBB0_19:
	s_endpgm
	.section	.rodata,"a",@progbits
	.p2align	6, 0x0
	.amdhsa_kernel fft_rtc_back_len726_factors_11_6_11_wgs_132_tpt_66_half_op_CI_CI_unitstride_sbrr_dirReg
		.amdhsa_group_segment_fixed_size 0
		.amdhsa_private_segment_fixed_size 0
		.amdhsa_kernarg_size 104
		.amdhsa_user_sgpr_count 6
		.amdhsa_user_sgpr_private_segment_buffer 1
		.amdhsa_user_sgpr_dispatch_ptr 0
		.amdhsa_user_sgpr_queue_ptr 0
		.amdhsa_user_sgpr_kernarg_segment_ptr 1
		.amdhsa_user_sgpr_dispatch_id 0
		.amdhsa_user_sgpr_flat_scratch_init 0
		.amdhsa_user_sgpr_private_segment_size 0
		.amdhsa_uses_dynamic_stack 0
		.amdhsa_system_sgpr_private_segment_wavefront_offset 0
		.amdhsa_system_sgpr_workgroup_id_x 1
		.amdhsa_system_sgpr_workgroup_id_y 0
		.amdhsa_system_sgpr_workgroup_id_z 0
		.amdhsa_system_sgpr_workgroup_info 0
		.amdhsa_system_vgpr_workitem_id 0
		.amdhsa_next_free_vgpr 98
		.amdhsa_next_free_sgpr 28
		.amdhsa_reserve_vcc 1
		.amdhsa_reserve_flat_scratch 0
		.amdhsa_float_round_mode_32 0
		.amdhsa_float_round_mode_16_64 0
		.amdhsa_float_denorm_mode_32 3
		.amdhsa_float_denorm_mode_16_64 3
		.amdhsa_dx10_clamp 1
		.amdhsa_ieee_mode 1
		.amdhsa_fp16_overflow 0
		.amdhsa_exception_fp_ieee_invalid_op 0
		.amdhsa_exception_fp_denorm_src 0
		.amdhsa_exception_fp_ieee_div_zero 0
		.amdhsa_exception_fp_ieee_overflow 0
		.amdhsa_exception_fp_ieee_underflow 0
		.amdhsa_exception_fp_ieee_inexact 0
		.amdhsa_exception_int_div_zero 0
	.end_amdhsa_kernel
	.text
.Lfunc_end0:
	.size	fft_rtc_back_len726_factors_11_6_11_wgs_132_tpt_66_half_op_CI_CI_unitstride_sbrr_dirReg, .Lfunc_end0-fft_rtc_back_len726_factors_11_6_11_wgs_132_tpt_66_half_op_CI_CI_unitstride_sbrr_dirReg
                                        ; -- End function
	.section	.AMDGPU.csdata,"",@progbits
; Kernel info:
; codeLenInByte = 7532
; NumSgprs: 32
; NumVgprs: 98
; ScratchSize: 0
; MemoryBound: 0
; FloatMode: 240
; IeeeMode: 1
; LDSByteSize: 0 bytes/workgroup (compile time only)
; SGPRBlocks: 3
; VGPRBlocks: 24
; NumSGPRsForWavesPerEU: 32
; NumVGPRsForWavesPerEU: 98
; Occupancy: 2
; WaveLimiterHint : 1
; COMPUTE_PGM_RSRC2:SCRATCH_EN: 0
; COMPUTE_PGM_RSRC2:USER_SGPR: 6
; COMPUTE_PGM_RSRC2:TRAP_HANDLER: 0
; COMPUTE_PGM_RSRC2:TGID_X_EN: 1
; COMPUTE_PGM_RSRC2:TGID_Y_EN: 0
; COMPUTE_PGM_RSRC2:TGID_Z_EN: 0
; COMPUTE_PGM_RSRC2:TIDIG_COMP_CNT: 0
	.type	__hip_cuid_71bc271c00749eb1,@object ; @__hip_cuid_71bc271c00749eb1
	.section	.bss,"aw",@nobits
	.globl	__hip_cuid_71bc271c00749eb1
__hip_cuid_71bc271c00749eb1:
	.byte	0                               ; 0x0
	.size	__hip_cuid_71bc271c00749eb1, 1

	.ident	"AMD clang version 19.0.0git (https://github.com/RadeonOpenCompute/llvm-project roc-6.4.0 25133 c7fe45cf4b819c5991fe208aaa96edf142730f1d)"
	.section	".note.GNU-stack","",@progbits
	.addrsig
	.addrsig_sym __hip_cuid_71bc271c00749eb1
	.amdgpu_metadata
---
amdhsa.kernels:
  - .args:
      - .actual_access:  read_only
        .address_space:  global
        .offset:         0
        .size:           8
        .value_kind:     global_buffer
      - .offset:         8
        .size:           8
        .value_kind:     by_value
      - .actual_access:  read_only
        .address_space:  global
        .offset:         16
        .size:           8
        .value_kind:     global_buffer
      - .actual_access:  read_only
        .address_space:  global
        .offset:         24
        .size:           8
        .value_kind:     global_buffer
      - .actual_access:  read_only
        .address_space:  global
        .offset:         32
        .size:           8
        .value_kind:     global_buffer
      - .offset:         40
        .size:           8
        .value_kind:     by_value
      - .actual_access:  read_only
        .address_space:  global
        .offset:         48
        .size:           8
        .value_kind:     global_buffer
      - .actual_access:  read_only
        .address_space:  global
        .offset:         56
        .size:           8
        .value_kind:     global_buffer
      - .offset:         64
        .size:           4
        .value_kind:     by_value
      - .actual_access:  read_only
        .address_space:  global
        .offset:         72
        .size:           8
        .value_kind:     global_buffer
      - .actual_access:  read_only
        .address_space:  global
        .offset:         80
        .size:           8
        .value_kind:     global_buffer
      - .actual_access:  read_only
        .address_space:  global
        .offset:         88
        .size:           8
        .value_kind:     global_buffer
      - .actual_access:  write_only
        .address_space:  global
        .offset:         96
        .size:           8
        .value_kind:     global_buffer
    .group_segment_fixed_size: 0
    .kernarg_segment_align: 8
    .kernarg_segment_size: 104
    .language:       OpenCL C
    .language_version:
      - 2
      - 0
    .max_flat_workgroup_size: 132
    .name:           fft_rtc_back_len726_factors_11_6_11_wgs_132_tpt_66_half_op_CI_CI_unitstride_sbrr_dirReg
    .private_segment_fixed_size: 0
    .sgpr_count:     32
    .sgpr_spill_count: 0
    .symbol:         fft_rtc_back_len726_factors_11_6_11_wgs_132_tpt_66_half_op_CI_CI_unitstride_sbrr_dirReg.kd
    .uniform_work_group_size: 1
    .uses_dynamic_stack: false
    .vgpr_count:     98
    .vgpr_spill_count: 0
    .wavefront_size: 64
amdhsa.target:   amdgcn-amd-amdhsa--gfx906
amdhsa.version:
  - 1
  - 2
...

	.end_amdgpu_metadata
